;; amdgpu-corpus repo=ROCm/rocFFT kind=compiled arch=gfx1030 opt=O3
	.text
	.amdgcn_target "amdgcn-amd-amdhsa--gfx1030"
	.amdhsa_code_object_version 6
	.protected	fft_rtc_fwd_len594_factors_11_3_6_3_wgs_99_tpt_99_sp_ip_CI_unitstride_sbrr_dirReg ; -- Begin function fft_rtc_fwd_len594_factors_11_3_6_3_wgs_99_tpt_99_sp_ip_CI_unitstride_sbrr_dirReg
	.globl	fft_rtc_fwd_len594_factors_11_3_6_3_wgs_99_tpt_99_sp_ip_CI_unitstride_sbrr_dirReg
	.p2align	8
	.type	fft_rtc_fwd_len594_factors_11_3_6_3_wgs_99_tpt_99_sp_ip_CI_unitstride_sbrr_dirReg,@function
fft_rtc_fwd_len594_factors_11_3_6_3_wgs_99_tpt_99_sp_ip_CI_unitstride_sbrr_dirReg: ; @fft_rtc_fwd_len594_factors_11_3_6_3_wgs_99_tpt_99_sp_ip_CI_unitstride_sbrr_dirReg
; %bb.0:
	s_clause 0x2
	s_load_dwordx4 s[8:11], s[4:5], 0x0
	s_load_dwordx2 s[2:3], s[4:5], 0x50
	s_load_dwordx2 s[12:13], s[4:5], 0x18
	v_mul_u32_u24_e32 v1, 0x296, v0
	v_mov_b32_e32 v3, 0
	v_add_nc_u32_sdwa v5, s6, v1 dst_sel:DWORD dst_unused:UNUSED_PAD src0_sel:DWORD src1_sel:WORD_1
	v_mov_b32_e32 v1, 0
	v_mov_b32_e32 v6, v3
	v_mov_b32_e32 v2, 0
	s_waitcnt lgkmcnt(0)
	v_cmp_lt_u64_e64 s0, s[10:11], 2
	s_and_b32 vcc_lo, exec_lo, s0
	s_cbranch_vccnz .LBB0_8
; %bb.1:
	s_load_dwordx2 s[0:1], s[4:5], 0x10
	v_mov_b32_e32 v1, 0
	s_add_u32 s6, s12, 8
	v_mov_b32_e32 v2, 0
	s_addc_u32 s7, s13, 0
	s_mov_b64 s[16:17], 1
	s_waitcnt lgkmcnt(0)
	s_add_u32 s14, s0, 8
	s_addc_u32 s15, s1, 0
.LBB0_2:                                ; =>This Inner Loop Header: Depth=1
	s_load_dwordx2 s[18:19], s[14:15], 0x0
                                        ; implicit-def: $vgpr7_vgpr8
	s_mov_b32 s0, exec_lo
	s_waitcnt lgkmcnt(0)
	v_or_b32_e32 v4, s19, v6
	v_cmpx_ne_u64_e32 0, v[3:4]
	s_xor_b32 s1, exec_lo, s0
	s_cbranch_execz .LBB0_4
; %bb.3:                                ;   in Loop: Header=BB0_2 Depth=1
	v_cvt_f32_u32_e32 v4, s18
	v_cvt_f32_u32_e32 v7, s19
	s_sub_u32 s0, 0, s18
	s_subb_u32 s20, 0, s19
	v_fmac_f32_e32 v4, 0x4f800000, v7
	v_rcp_f32_e32 v4, v4
	v_mul_f32_e32 v4, 0x5f7ffffc, v4
	v_mul_f32_e32 v7, 0x2f800000, v4
	v_trunc_f32_e32 v7, v7
	v_fmac_f32_e32 v4, 0xcf800000, v7
	v_cvt_u32_f32_e32 v7, v7
	v_cvt_u32_f32_e32 v4, v4
	v_mul_lo_u32 v8, s0, v7
	v_mul_hi_u32 v9, s0, v4
	v_mul_lo_u32 v10, s20, v4
	v_add_nc_u32_e32 v8, v9, v8
	v_mul_lo_u32 v9, s0, v4
	v_add_nc_u32_e32 v8, v8, v10
	v_mul_hi_u32 v10, v4, v9
	v_mul_lo_u32 v11, v4, v8
	v_mul_hi_u32 v12, v4, v8
	v_mul_hi_u32 v13, v7, v9
	v_mul_lo_u32 v9, v7, v9
	v_mul_hi_u32 v14, v7, v8
	v_mul_lo_u32 v8, v7, v8
	v_add_co_u32 v10, vcc_lo, v10, v11
	v_add_co_ci_u32_e32 v11, vcc_lo, 0, v12, vcc_lo
	v_add_co_u32 v9, vcc_lo, v10, v9
	v_add_co_ci_u32_e32 v9, vcc_lo, v11, v13, vcc_lo
	v_add_co_ci_u32_e32 v10, vcc_lo, 0, v14, vcc_lo
	v_add_co_u32 v8, vcc_lo, v9, v8
	v_add_co_ci_u32_e32 v9, vcc_lo, 0, v10, vcc_lo
	v_add_co_u32 v4, vcc_lo, v4, v8
	v_add_co_ci_u32_e32 v7, vcc_lo, v7, v9, vcc_lo
	v_mul_hi_u32 v8, s0, v4
	v_mul_lo_u32 v10, s20, v4
	v_mul_lo_u32 v9, s0, v7
	v_add_nc_u32_e32 v8, v8, v9
	v_mul_lo_u32 v9, s0, v4
	v_add_nc_u32_e32 v8, v8, v10
	v_mul_hi_u32 v10, v4, v9
	v_mul_lo_u32 v11, v4, v8
	v_mul_hi_u32 v12, v4, v8
	v_mul_hi_u32 v13, v7, v9
	v_mul_lo_u32 v9, v7, v9
	v_mul_hi_u32 v14, v7, v8
	v_mul_lo_u32 v8, v7, v8
	v_add_co_u32 v10, vcc_lo, v10, v11
	v_add_co_ci_u32_e32 v11, vcc_lo, 0, v12, vcc_lo
	v_add_co_u32 v9, vcc_lo, v10, v9
	v_add_co_ci_u32_e32 v9, vcc_lo, v11, v13, vcc_lo
	v_add_co_ci_u32_e32 v10, vcc_lo, 0, v14, vcc_lo
	v_add_co_u32 v8, vcc_lo, v9, v8
	v_add_co_ci_u32_e32 v9, vcc_lo, 0, v10, vcc_lo
	v_add_co_u32 v4, vcc_lo, v4, v8
	v_add_co_ci_u32_e32 v11, vcc_lo, v7, v9, vcc_lo
	v_mul_hi_u32 v13, v5, v4
	v_mad_u64_u32 v[9:10], null, v6, v4, 0
	v_mad_u64_u32 v[7:8], null, v5, v11, 0
	;; [unrolled: 1-line block ×3, first 2 shown]
	v_add_co_u32 v4, vcc_lo, v13, v7
	v_add_co_ci_u32_e32 v7, vcc_lo, 0, v8, vcc_lo
	v_add_co_u32 v4, vcc_lo, v4, v9
	v_add_co_ci_u32_e32 v4, vcc_lo, v7, v10, vcc_lo
	v_add_co_ci_u32_e32 v7, vcc_lo, 0, v12, vcc_lo
	v_add_co_u32 v4, vcc_lo, v4, v11
	v_add_co_ci_u32_e32 v9, vcc_lo, 0, v7, vcc_lo
	v_mul_lo_u32 v10, s19, v4
	v_mad_u64_u32 v[7:8], null, s18, v4, 0
	v_mul_lo_u32 v11, s18, v9
	v_sub_co_u32 v7, vcc_lo, v5, v7
	v_add3_u32 v8, v8, v11, v10
	v_sub_nc_u32_e32 v10, v6, v8
	v_subrev_co_ci_u32_e64 v10, s0, s19, v10, vcc_lo
	v_add_co_u32 v11, s0, v4, 2
	v_add_co_ci_u32_e64 v12, s0, 0, v9, s0
	v_sub_co_u32 v13, s0, v7, s18
	v_sub_co_ci_u32_e32 v8, vcc_lo, v6, v8, vcc_lo
	v_subrev_co_ci_u32_e64 v10, s0, 0, v10, s0
	v_cmp_le_u32_e32 vcc_lo, s18, v13
	v_cmp_eq_u32_e64 s0, s19, v8
	v_cndmask_b32_e64 v13, 0, -1, vcc_lo
	v_cmp_le_u32_e32 vcc_lo, s19, v10
	v_cndmask_b32_e64 v14, 0, -1, vcc_lo
	v_cmp_le_u32_e32 vcc_lo, s18, v7
	;; [unrolled: 2-line block ×3, first 2 shown]
	v_cndmask_b32_e64 v15, 0, -1, vcc_lo
	v_cmp_eq_u32_e32 vcc_lo, s19, v10
	v_cndmask_b32_e64 v7, v15, v7, s0
	v_cndmask_b32_e32 v10, v14, v13, vcc_lo
	v_add_co_u32 v13, vcc_lo, v4, 1
	v_add_co_ci_u32_e32 v14, vcc_lo, 0, v9, vcc_lo
	v_cmp_ne_u32_e32 vcc_lo, 0, v10
	v_cndmask_b32_e32 v8, v14, v12, vcc_lo
	v_cndmask_b32_e32 v10, v13, v11, vcc_lo
	v_cmp_ne_u32_e32 vcc_lo, 0, v7
	v_cndmask_b32_e32 v8, v9, v8, vcc_lo
	v_cndmask_b32_e32 v7, v4, v10, vcc_lo
.LBB0_4:                                ;   in Loop: Header=BB0_2 Depth=1
	s_andn2_saveexec_b32 s0, s1
	s_cbranch_execz .LBB0_6
; %bb.5:                                ;   in Loop: Header=BB0_2 Depth=1
	v_cvt_f32_u32_e32 v4, s18
	s_sub_i32 s1, 0, s18
	v_rcp_iflag_f32_e32 v4, v4
	v_mul_f32_e32 v4, 0x4f7ffffe, v4
	v_cvt_u32_f32_e32 v4, v4
	v_mul_lo_u32 v7, s1, v4
	v_mul_hi_u32 v7, v4, v7
	v_add_nc_u32_e32 v4, v4, v7
	v_mul_hi_u32 v4, v5, v4
	v_mul_lo_u32 v7, v4, s18
	v_add_nc_u32_e32 v8, 1, v4
	v_sub_nc_u32_e32 v7, v5, v7
	v_subrev_nc_u32_e32 v9, s18, v7
	v_cmp_le_u32_e32 vcc_lo, s18, v7
	v_cndmask_b32_e32 v7, v7, v9, vcc_lo
	v_cndmask_b32_e32 v4, v4, v8, vcc_lo
	v_cmp_le_u32_e32 vcc_lo, s18, v7
	v_add_nc_u32_e32 v8, 1, v4
	v_cndmask_b32_e32 v7, v4, v8, vcc_lo
	v_mov_b32_e32 v8, v3
.LBB0_6:                                ;   in Loop: Header=BB0_2 Depth=1
	s_or_b32 exec_lo, exec_lo, s0
	s_load_dwordx2 s[0:1], s[6:7], 0x0
	v_mul_lo_u32 v4, v8, s18
	v_mul_lo_u32 v11, v7, s19
	v_mad_u64_u32 v[9:10], null, v7, s18, 0
	s_add_u32 s16, s16, 1
	s_addc_u32 s17, s17, 0
	s_add_u32 s6, s6, 8
	s_addc_u32 s7, s7, 0
	;; [unrolled: 2-line block ×3, first 2 shown]
	v_add3_u32 v4, v10, v11, v4
	v_sub_co_u32 v5, vcc_lo, v5, v9
	v_sub_co_ci_u32_e32 v4, vcc_lo, v6, v4, vcc_lo
	s_waitcnt lgkmcnt(0)
	v_mul_lo_u32 v6, s1, v5
	v_mul_lo_u32 v4, s0, v4
	v_mad_u64_u32 v[1:2], null, s0, v5, v[1:2]
	v_cmp_ge_u64_e64 s0, s[16:17], s[10:11]
	s_and_b32 vcc_lo, exec_lo, s0
	v_add3_u32 v2, v6, v2, v4
	s_cbranch_vccnz .LBB0_9
; %bb.7:                                ;   in Loop: Header=BB0_2 Depth=1
	v_mov_b32_e32 v5, v7
	v_mov_b32_e32 v6, v8
	s_branch .LBB0_2
.LBB0_8:
	v_mov_b32_e32 v8, v6
	v_mov_b32_e32 v7, v5
.LBB0_9:
	s_lshl_b64 s[0:1], s[10:11], 3
	v_mul_hi_u32 v3, 0x295fad5, v0
	s_add_u32 s0, s12, s0
	s_addc_u32 s1, s13, s1
                                        ; implicit-def: $vgpr25
                                        ; implicit-def: $vgpr21
                                        ; implicit-def: $vgpr19
                                        ; implicit-def: $vgpr23
                                        ; implicit-def: $vgpr17
                                        ; implicit-def: $vgpr9
                                        ; implicit-def: $vgpr11
                                        ; implicit-def: $vgpr13
                                        ; implicit-def: $vgpr15
	s_load_dwordx2 s[0:1], s[0:1], 0x0
	s_load_dwordx2 s[4:5], s[4:5], 0x20
	v_mul_u32_u24_e32 v3, 0x63, v3
	v_sub_nc_u32_e32 v0, v0, v3
	s_waitcnt lgkmcnt(0)
	v_mul_lo_u32 v4, s0, v8
	v_mul_lo_u32 v5, s1, v7
	v_mad_u64_u32 v[1:2], null, s0, v7, v[1:2]
	v_cmp_gt_u64_e32 vcc_lo, s[4:5], v[7:8]
	v_cmp_gt_u32_e64 s0, 54, v0
                                        ; implicit-def: $vgpr7
	s_and_b32 s1, vcc_lo, s0
	v_add3_u32 v2, v5, v2, v4
	v_mov_b32_e32 v5, 0
	v_mov_b32_e32 v4, 0
	v_lshlrev_b64 v[2:3], 3, v[1:2]
	s_and_saveexec_b32 s4, s1
	s_cbranch_execz .LBB0_11
; %bb.10:
	v_mov_b32_e32 v1, 0
	v_lshlrev_b64 v[4:5], 3, v[0:1]
	v_add_co_u32 v1, s1, s2, v2
	v_add_co_ci_u32_e64 v7, s1, s3, v3, s1
	v_add_co_u32 v6, s1, v1, v4
	v_add_co_ci_u32_e64 v7, s1, v7, v5, s1
	s_clause 0x3
	global_load_dwordx2 v[4:5], v[6:7], off
	global_load_dwordx2 v[24:25], v[6:7], off offset:432
	global_load_dwordx2 v[20:21], v[6:7], off offset:864
	;; [unrolled: 1-line block ×3, first 2 shown]
	v_add_co_u32 v8, s1, 0x800, v6
	v_add_co_ci_u32_e64 v9, s1, 0, v7, s1
	v_add_co_u32 v26, s1, 0x1000, v6
	v_add_co_ci_u32_e64 v27, s1, 0, v7, s1
	s_clause 0x6
	global_load_dwordx2 v[22:23], v[6:7], off offset:1728
	global_load_dwordx2 v[16:17], v[8:9], off offset:112
	;; [unrolled: 1-line block ×7, first 2 shown]
.LBB0_11:
	s_or_b32 exec_lo, exec_lo, s4
	s_and_saveexec_b32 s1, s0
	s_cbranch_execz .LBB0_13
; %bb.12:
	s_waitcnt vmcnt(0)
	v_sub_f32_e32 v32, v24, v6
	v_add_f32_e32 v28, v25, v7
	v_sub_f32_e32 v33, v20, v8
	v_add_f32_e32 v27, v21, v9
	v_sub_f32_e32 v34, v18, v10
	v_mul_f32_e32 v35, 0xbe903f40, v32
	v_add_f32_e32 v38, v24, v6
	v_mul_f32_e32 v37, 0x3f0a6770, v33
	v_add_f32_e32 v26, v19, v11
	v_sub_f32_e32 v29, v25, v7
	v_fmamk_f32 v30, v28, 0xbf75a155, v35
	v_mul_f32_e32 v39, 0xbf4178ce, v34
	v_fmamk_f32 v31, v27, 0x3f575c64, v37
	v_mul_f32_e32 v41, 0xbf75a155, v38
	v_add_f32_e32 v42, v20, v8
	v_add_f32_e32 v40, v5, v30
	v_sub_f32_e32 v30, v21, v9
	v_fmamk_f32 v43, v26, 0xbf27a4f4, v39
	v_add_f32_e32 v45, v18, v10
	v_mul_f32_e32 v44, 0x3f575c64, v42
	v_add_f32_e32 v31, v40, v31
	v_fmamk_f32 v40, v29, 0x3e903f40, v41
	v_sub_f32_e32 v36, v22, v12
	v_mul_f32_e32 v48, 0xbf27a4f4, v45
	v_fmamk_f32 v47, v30, 0xbf0a6770, v44
	v_add_f32_e32 v43, v31, v43
	v_add_f32_e32 v40, v4, v40
	v_sub_f32_e32 v31, v19, v11
	v_add_f32_e32 v49, v22, v12
	v_add_f32_e32 v1, v23, v13
	v_mul_f32_e32 v46, 0x3f68dda4, v36
	v_sub_f32_e32 v51, v16, v14
	v_add_f32_e32 v40, v40, v47
	v_add_f32_e32 v25, v5, v25
	;; [unrolled: 1-line block ×3, first 2 shown]
	v_fmamk_f32 v47, v31, 0x3f4178ce, v48
	v_mul_f32_e32 v52, 0x3ed4b147, v49
	v_sub_f32_e32 v53, v23, v13
	v_fmamk_f32 v50, v1, 0x3ed4b147, v46
	v_add_f32_e32 v21, v25, v21
	v_mul_f32_e32 v25, 0xbf7d64f0, v51
	v_add_f32_e32 v54, v17, v15
	v_add_f32_e32 v40, v40, v47
	v_fmamk_f32 v47, v53, 0xbf68dda4, v52
	v_add_f32_e32 v24, v24, v20
	v_add_f32_e32 v43, v43, v50
	v_fmamk_f32 v50, v54, 0xbe11bafb, v25
	v_add_f32_e32 v21, v21, v19
	v_add_f32_e32 v40, v40, v47
	v_mul_f32_e32 v47, 0xbf4178ce, v32
	v_add_f32_e32 v18, v24, v18
	v_add_f32_e32 v55, v16, v14
	;; [unrolled: 1-line block ×3, first 2 shown]
	v_mul_f32_e32 v50, 0x3f7d64f0, v33
	v_fmamk_f32 v24, v28, 0xbf27a4f4, v47
	v_add_f32_e32 v21, v21, v23
	v_add_f32_e32 v18, v18, v22
	v_mul_f32_e32 v56, 0xbe11bafb, v55
	v_sub_f32_e32 v57, v17, v15
	v_add_f32_e32 v22, v5, v24
	v_fmamk_f32 v23, v27, 0xbe11bafb, v50
	v_mul_f32_e32 v24, 0xbf0a6770, v34
	v_add_f32_e32 v17, v21, v17
	v_mul_f32_e32 v21, 0xbf27a4f4, v38
	v_add_f32_e32 v16, v18, v16
	v_fmamk_f32 v43, v57, 0x3f7d64f0, v56
	v_add_f32_e32 v18, v22, v23
	v_fmamk_f32 v22, v26, 0x3f575c64, v24
	v_add_f32_e32 v15, v17, v15
	v_fmamk_f32 v17, v29, 0x3f4178ce, v21
	v_mul_f32_e32 v23, 0xbe11bafb, v42
	v_add_f32_e32 v14, v16, v14
	v_add_f32_e32 v19, v40, v43
	v_mul_f32_e32 v40, 0xbe903f40, v36
	v_add_f32_e32 v16, v18, v22
	v_add_f32_e32 v17, v4, v17
	v_fmamk_f32 v18, v30, 0xbf7d64f0, v23
	v_mul_f32_e32 v22, 0x3f575c64, v45
	v_add_f32_e32 v12, v12, v14
	v_fmamk_f32 v43, v1, 0xbf75a155, v40
	v_add_f32_e32 v13, v13, v15
	v_add_f32_e32 v14, v17, v18
	v_fmamk_f32 v15, v31, 0x3f0a6770, v22
	v_mul_f32_e32 v18, 0xbf75a155, v49
	v_add_f32_e32 v10, v10, v12
	v_add_f32_e32 v11, v11, v13
	;; [unrolled: 1-line block ×4, first 2 shown]
	v_fmamk_f32 v14, v53, 0x3e903f40, v18
	v_add_f32_e32 v8, v8, v10
	v_mul_f32_e32 v43, 0x3f68dda4, v51
	v_mul_f32_e32 v59, 0xbf7d64f0, v32
	v_add_f32_e32 v9, v9, v11
	v_add_f32_e32 v10, v13, v14
	;; [unrolled: 1-line block ×3, first 2 shown]
	v_fmamk_f32 v8, v54, 0x3ed4b147, v43
	v_mul_f32_e32 v60, 0xbe11bafb, v38
	v_fmamk_f32 v13, v28, 0xbe11bafb, v59
	v_mul_f32_e32 v61, 0x3e903f40, v33
	v_add_f32_e32 v7, v7, v9
	v_add_f32_e32 v9, v12, v8
	v_fmamk_f32 v8, v29, 0x3f7d64f0, v60
	v_mul_f32_e32 v62, 0xbf75a155, v42
	v_add_f32_e32 v12, v5, v13
	v_fmamk_f32 v13, v27, 0xbf75a155, v61
	v_mul_f32_e32 v63, 0x3f68dda4, v34
	v_mul_f32_e32 v58, 0x3ed4b147, v55
	v_add_f32_e32 v8, v4, v8
	v_fmamk_f32 v14, v30, 0xbe903f40, v62
	v_mul_f32_e32 v64, 0x3ed4b147, v45
	v_add_f32_e32 v12, v12, v13
	v_fmamk_f32 v13, v26, 0x3ed4b147, v63
	v_mul_f32_e32 v65, 0xbf0a6770, v36
	v_fmamk_f32 v11, v57, 0xbf68dda4, v58
	v_add_f32_e32 v8, v8, v14
	v_fmamk_f32 v14, v31, 0xbf68dda4, v64
	v_mul_f32_e32 v66, 0x3f575c64, v49
	v_add_f32_e32 v12, v12, v13
	v_fmamk_f32 v13, v1, 0x3f575c64, v65
	v_mul_f32_e32 v67, 0xbf4178ce, v51
	v_add_f32_e32 v14, v8, v14
	v_fmamk_f32 v15, v53, 0x3f0a6770, v66
	v_add_f32_e32 v8, v10, v11
	v_add_f32_e32 v10, v12, v13
	v_fmamk_f32 v11, v54, 0xbf27a4f4, v67
	v_mul_f32_e32 v68, 0xbf68dda4, v32
	v_mul_f32_e32 v70, 0x3ed4b147, v38
	v_add_f32_e32 v12, v14, v15
	v_mul_f32_e32 v71, 0xbf4178ce, v33
	v_add_f32_e32 v11, v10, v11
	v_fmamk_f32 v10, v28, 0x3ed4b147, v68
	v_fmamk_f32 v14, v29, 0x3f68dda4, v70
	v_mul_f32_e32 v72, 0xbf27a4f4, v42
	v_mul_f32_e32 v69, 0xbf27a4f4, v55
	v_fmamk_f32 v15, v27, 0xbf27a4f4, v71
	v_add_f32_e32 v10, v5, v10
	v_mul_f32_e32 v73, 0x3e903f40, v34
	v_add_f32_e32 v14, v4, v14
	v_fmamk_f32 v16, v30, 0x3f4178ce, v72
	v_mul_f32_e32 v74, 0xbf75a155, v45
	v_fmamk_f32 v13, v57, 0x3f4178ce, v69
	v_add_f32_e32 v15, v10, v15
	v_fmamk_f32 v17, v26, 0xbf75a155, v73
	v_mul_f32_e32 v75, 0x3f7d64f0, v36
	v_add_f32_e32 v14, v14, v16
	v_fmamk_f32 v16, v31, 0xbe903f40, v74
	v_mul_f32_e32 v76, 0xbe11bafb, v49
	v_add_f32_e32 v10, v12, v13
	v_add_f32_e32 v12, v15, v17
	v_fmamk_f32 v13, v1, 0xbe11bafb, v75
	v_add_f32_e32 v14, v14, v16
	v_fmamk_f32 v15, v53, 0xbf7d64f0, v76
	v_mul_f32_e32 v77, 0x3f0a6770, v51
	v_mul_f32_e32 v78, 0x3f575c64, v55
	v_add_f32_e32 v12, v12, v13
	v_mul_f32_e32 v32, 0xbf0a6770, v32
	v_add_f32_e32 v14, v14, v15
	v_fmamk_f32 v13, v54, 0x3f575c64, v77
	v_fmamk_f32 v15, v57, 0xbf0a6770, v78
	v_mul_f32_e32 v33, 0xbf68dda4, v33
	v_mul_f32_e32 v34, 0xbf7d64f0, v34
	v_mul_f32_e32 v36, 0xbf4178ce, v36
	v_add_f32_e32 v13, v12, v13
	v_add_f32_e32 v12, v14, v15
	v_fmamk_f32 v14, v28, 0x3f575c64, v32
	v_fmamk_f32 v15, v27, 0x3ed4b147, v33
	v_mul_f32_e32 v38, 0x3f575c64, v38
	v_mul_f32_e32 v42, 0x3ed4b147, v42
	;; [unrolled: 1-line block ×3, first 2 shown]
	v_add_f32_e32 v14, v5, v14
	v_mul_f32_e32 v49, 0xbf27a4f4, v49
	v_fmac_f32_e32 v41, 0xbe903f40, v29
	v_fmamk_f32 v16, v30, 0x3f68dda4, v42
	v_fma_f32 v17, 0x3f575c64, v27, -v37
	v_add_f32_e32 v14, v14, v15
	v_fmamk_f32 v15, v26, 0xbe11bafb, v34
	v_add_f32_e32 v37, v4, v41
	v_fmac_f32_e32 v44, 0x3f0a6770, v30
	v_mul_f32_e32 v41, 0xbf75a155, v55
	v_fma_f32 v39, 0xbf27a4f4, v26, -v39
	v_add_f32_e32 v14, v14, v15
	v_fmamk_f32 v15, v1, 0xbf27a4f4, v36
	v_add_f32_e32 v37, v37, v44
	v_fma_f32 v44, 0xbf27a4f4, v28, -v47
	v_fmac_f32_e32 v21, 0xbf4178ce, v29
	v_fmac_f32_e32 v48, 0xbf4178ce, v31
	v_add_f32_e32 v14, v14, v15
	v_fmamk_f32 v15, v29, 0x3f0a6770, v38
	v_fma_f32 v25, 0xbe11bafb, v54, -v25
	v_add_f32_e32 v21, v4, v21
	v_fmac_f32_e32 v23, 0x3f7d64f0, v30
	v_fma_f32 v24, 0x3f575c64, v26, -v24
	v_add_f32_e32 v15, v4, v15
	v_add_f32_e32 v37, v37, v48
	v_fmac_f32_e32 v52, 0x3f68dda4, v53
	v_add_f32_e32 v21, v21, v23
	v_fmac_f32_e32 v22, 0xbf0a6770, v31
	v_add_f32_e32 v15, v15, v16
	v_fmamk_f32 v16, v31, 0x3f7d64f0, v45
	v_add_f32_e32 v37, v37, v52
	v_fmac_f32_e32 v56, 0xbf7d64f0, v57
	v_add_f32_e32 v21, v21, v22
	v_fmac_f32_e32 v18, 0xbe903f40, v53
	v_add_f32_e32 v15, v15, v16
	v_fmamk_f32 v16, v53, 0x3f4178ce, v49
	v_fmac_f32_e32 v60, 0xbf7d64f0, v29
	v_fmac_f32_e32 v62, 0x3e903f40, v30
	v_add_f32_e32 v18, v21, v18
	v_fmac_f32_e32 v64, 0x3f68dda4, v31
	v_add_f32_e32 v16, v15, v16
	v_fma_f32 v15, 0xbf75a155, v28, -v35
	v_mul_f32_e32 v35, 0xbe903f40, v51
	v_add_f32_e32 v21, v4, v60
	v_fmac_f32_e32 v58, 0x3f68dda4, v57
	v_fmac_f32_e32 v66, 0xbf0a6770, v53
	v_add_f32_e32 v15, v5, v15
	v_fmac_f32_e32 v70, 0xbf68dda4, v29
	v_add_f32_e32 v21, v21, v62
	v_fmac_f32_e32 v38, 0xbf0a6770, v29
	v_fmac_f32_e32 v72, 0xbf4178ce, v30
	v_add_f32_e32 v17, v15, v17
	v_fmamk_f32 v15, v54, 0xbf75a155, v35
	v_add_f32_e32 v21, v21, v64
	v_add_f32_e32 v29, v4, v70
	;; [unrolled: 1-line block ×5, first 2 shown]
	v_fmamk_f32 v14, v57, 0x3e903f40, v41
	v_fma_f32 v39, 0x3ed4b147, v1, -v46
	v_fmac_f32_e32 v42, 0xbf68dda4, v30
	v_fmac_f32_e32 v74, 0x3e903f40, v31
	;; [unrolled: 1-line block ×3, first 2 shown]
	v_add_f32_e32 v14, v16, v14
	v_add_f32_e32 v16, v17, v39
	;; [unrolled: 1-line block ×3, first 2 shown]
	v_fma_f32 v39, 0xbe11bafb, v27, -v50
	v_add_f32_e32 v4, v4, v42
	v_fmac_f32_e32 v76, 0x3f7d64f0, v53
	v_fmac_f32_e32 v49, 0xbf4178ce, v53
	;; [unrolled: 1-line block ×3, first 2 shown]
	v_add_f32_e32 v39, v17, v39
	v_add_f32_e32 v17, v16, v25
	v_fma_f32 v25, 0xbe11bafb, v28, -v59
	v_add_f32_e32 v16, v37, v56
	v_fma_f32 v37, 0x3ed4b147, v28, -v68
	;; [unrolled: 2-line block ×3, first 2 shown]
	v_fma_f32 v40, 0xbe11bafb, v1, -v75
	v_fma_f32 v39, 0x3f575c64, v1, -v65
	;; [unrolled: 1-line block ×3, first 2 shown]
	v_add_f32_e32 v4, v4, v45
	v_add_f32_e32 v22, v23, v24
	;; [unrolled: 1-line block ×3, first 2 shown]
	v_fma_f32 v24, 0xbf75a155, v27, -v61
	v_fma_f32 v25, 0x3ed4b147, v54, -v43
	v_fmac_f32_e32 v78, 0x3f0a6770, v57
	v_fmac_f32_e32 v41, 0xbe903f40, v57
	v_add_f32_e32 v23, v23, v24
	v_fma_f32 v24, 0x3ed4b147, v26, -v63
	v_add_f32_e32 v22, v22, v25
	v_fma_f32 v25, 0xbf75a155, v26, -v73
	v_add_f32_e32 v23, v23, v24
	v_add_f32_e32 v24, v5, v37
	v_fma_f32 v37, 0xbf27a4f4, v27, -v71
	v_add_f32_e32 v23, v23, v39
	v_fma_f32 v39, 0xbf27a4f4, v54, -v67
	v_add_f32_e32 v24, v24, v37
	v_add_f32_e32 v37, v21, v66
	;; [unrolled: 1-line block ×7, first 2 shown]
	v_fma_f32 v25, 0x3f575c64, v28, -v32
	v_fma_f32 v28, 0x3f575c64, v54, -v77
	v_add_f32_e32 v5, v5, v25
	v_fma_f32 v25, 0x3ed4b147, v27, -v33
	v_add_f32_e32 v27, v29, v72
	v_mad_u32_u24 v29, 0x58, v0, 0
	v_add_f32_e32 v5, v5, v25
	v_fma_f32 v25, 0xbe11bafb, v26, -v34
	v_add_f32_e32 v26, v27, v74
	v_add_f32_e32 v27, v4, v49
	;; [unrolled: 1-line block ×4, first 2 shown]
	v_fma_f32 v26, 0xbf75a155, v54, -v35
	v_add_f32_e32 v1, v5, v1
	v_add_f32_e32 v5, v18, v28
	;; [unrolled: 1-line block ×5, first 2 shown]
	ds_write2_b64 v29, v[6:7], v[14:15] offset1:1
	ds_write2_b64 v29, v[12:13], v[10:11] offset0:2 offset1:3
	ds_write2_b64 v29, v[8:9], v[19:20] offset0:4 offset1:5
	;; [unrolled: 1-line block ×4, first 2 shown]
	ds_write_b64 v29, v[25:26] offset:80
.LBB0_13:
	s_or_b32 exec_lo, exec_lo, s1
	s_waitcnt vmcnt(10)
	v_and_b32_e32 v4, 0xff, v0
	v_add_nc_u32_e32 v1, 0x63, v0
	s_waitcnt vmcnt(0) lgkmcnt(0)
	s_barrier
	buffer_gl0_inv
	v_mul_lo_u16 v5, 0x75, v4
	v_and_b32_e32 v6, 0xff, v1
	v_mov_b32_e32 v31, 0x108
	v_mov_b32_e32 v32, 3
	;; [unrolled: 1-line block ×3, first 2 shown]
	v_lshrrev_b16 v5, 8, v5
	v_mul_lo_u16 v6, 0x75, v6
	v_sub_nc_u16 v7, v0, v5
	v_lshrrev_b16 v6, 8, v6
	v_lshrrev_b16 v7, 1, v7
	v_sub_nc_u16 v8, v1, v6
	v_and_b32_e32 v7, 0x7f, v7
	v_lshrrev_b16 v8, 1, v8
	v_add_nc_u16 v5, v7, v5
	v_and_b32_e32 v7, 0x7f, v8
	v_lshrrev_b16 v24, 3, v5
	v_add_nc_u16 v5, v7, v6
	v_mul_lo_u16 v6, v24, 11
	v_lshrrev_b16 v26, 3, v5
	v_mov_b32_e32 v5, 4
	v_mul_u32_u24_sdwa v33, v24, v31 dst_sel:DWORD dst_unused:UNUSED_PAD src0_sel:WORD_0 src1_sel:DWORD
	v_sub_nc_u16 v25, v0, v6
	v_mul_lo_u16 v6, v26, 11
	v_mul_u32_u24_sdwa v26, v26, v31 dst_sel:DWORD dst_unused:UNUSED_PAD src0_sel:WORD_0 src1_sel:DWORD
	v_lshlrev_b32_sdwa v7, v5, v25 dst_sel:DWORD dst_unused:UNUSED_PAD src0_sel:DWORD src1_sel:BYTE_0
	v_sub_nc_u16 v27, v1, v6
	v_lshlrev_b32_sdwa v34, v32, v25 dst_sel:DWORD dst_unused:UNUSED_PAD src0_sel:DWORD src1_sel:BYTE_0
	global_load_dwordx4 v[6:9], v7, s[8:9]
	v_lshlrev_b32_sdwa v5, v5, v27 dst_sel:DWORD dst_unused:UNUSED_PAD src0_sel:DWORD src1_sel:BYTE_0
	v_add3_u32 v31, 0, v33, v34
	v_lshlrev_b32_sdwa v27, v32, v27 dst_sel:DWORD dst_unused:UNUSED_PAD src0_sel:DWORD src1_sel:BYTE_0
	global_load_dwordx4 v[10:13], v5, s[8:9]
	v_mul_lo_u16 v5, 0xf9, v4
	v_lshl_add_u32 v4, v0, 3, 0
	v_add3_u32 v26, 0, v26, v27
	v_lshrrev_b16 v29, 13, v5
	v_add_nc_u32_e32 v5, 0x800, v4
	ds_read2_b64 v[14:17], v4 offset0:99 offset1:198
	ds_read2_b64 v[18:21], v5 offset0:41 offset1:140
	v_mul_lo_u16 v22, v29, 33
	ds_read2_b32 v[24:25], v4 offset1:1
	v_sub_nc_u16 v30, v0, v22
	ds_read_b64 v[22:23], v4 offset:3960
	s_waitcnt vmcnt(0) lgkmcnt(0)
	s_barrier
	buffer_gl0_inv
	v_mul_u32_u24_sdwa v28, v30, v28 dst_sel:DWORD dst_unused:UNUSED_PAD src0_sel:BYTE_0 src1_sel:DWORD
	v_lshlrev_b32_sdwa v30, v32, v30 dst_sel:DWORD dst_unused:UNUSED_PAD src0_sel:DWORD src1_sel:BYTE_0
	v_lshlrev_b32_e32 v28, 3, v28
	v_mul_f32_e32 v33, v7, v17
	v_mul_f32_e32 v7, v7, v16
	;; [unrolled: 1-line block ×4, first 2 shown]
	v_fma_f32 v16, v6, v16, -v33
	v_fmac_f32_e32 v7, v6, v17
	v_fma_f32 v6, v8, v20, -v34
	v_mul_f32_e32 v17, v11, v19
	v_mul_f32_e32 v11, v11, v18
	;; [unrolled: 1-line block ×4, first 2 shown]
	v_fmac_f32_e32 v9, v8, v21
	v_fma_f32 v8, v10, v18, -v17
	v_fmac_f32_e32 v11, v10, v19
	v_fma_f32 v10, v12, v22, -v20
	v_fmac_f32_e32 v13, v12, v23
	v_add_f32_e32 v17, v16, v6
	v_add_f32_e32 v19, v25, v7
	;; [unrolled: 1-line block ×4, first 2 shown]
	v_sub_f32_e32 v18, v7, v9
	v_fma_f32 v24, -0.5, v17, v24
	v_add_f32_e32 v7, v19, v9
	v_fmac_f32_e32 v25, -0.5, v20
	v_add_f32_e32 v17, v8, v10
	v_sub_f32_e32 v19, v11, v13
	v_add_f32_e32 v20, v15, v11
	v_add_f32_e32 v11, v11, v13
	v_sub_f32_e32 v16, v16, v6
	v_add_f32_e32 v6, v12, v6
	v_add_f32_e32 v12, v14, v8
	v_sub_f32_e32 v21, v8, v10
	v_fma_f32 v14, -0.5, v17, v14
	v_fmac_f32_e32 v15, -0.5, v11
	v_fmamk_f32 v8, v18, 0x3f5db3d7, v24
	v_fmamk_f32 v9, v16, 0xbf5db3d7, v25
	v_fmac_f32_e32 v24, 0xbf5db3d7, v18
	v_fmac_f32_e32 v25, 0x3f5db3d7, v16
	v_add_f32_e32 v10, v12, v10
	v_add_f32_e32 v11, v20, v13
	v_fmamk_f32 v12, v19, 0x3f5db3d7, v14
	v_fmamk_f32 v13, v21, 0xbf5db3d7, v15
	v_fmac_f32_e32 v14, 0xbf5db3d7, v19
	v_fmac_f32_e32 v15, 0x3f5db3d7, v21
	ds_write2_b64 v31, v[6:7], v[8:9] offset1:11
	ds_write_b64 v31, v[24:25] offset:176
	ds_write2_b64 v26, v[10:11], v[12:13] offset1:11
	ds_write_b64 v26, v[14:15] offset:176
	s_waitcnt lgkmcnt(0)
	s_barrier
	buffer_gl0_inv
	s_clause 0x2
	global_load_dwordx4 v[7:10], v28, s[8:9] offset:176
	global_load_dwordx4 v[11:14], v28, s[8:9] offset:192
	global_load_dwordx2 v[27:28], v28, s[8:9] offset:208
	v_add_nc_u32_e32 v6, 0x400, v4
	ds_read2_b64 v[15:18], v4 offset1:99
	ds_read2_b64 v[19:22], v6 offset0:70 offset1:169
	ds_read2_b64 v[23:26], v5 offset0:140 offset1:239
	v_mov_b32_e32 v31, 0x630
	s_waitcnt vmcnt(0) lgkmcnt(0)
	s_barrier
	buffer_gl0_inv
	v_mul_u32_u24_sdwa v29, v29, v31 dst_sel:DWORD dst_unused:UNUSED_PAD src0_sel:WORD_0 src1_sel:DWORD
	v_add3_u32 v29, 0, v29, v30
	v_mul_f32_e32 v30, v8, v18
	v_mul_f32_e32 v31, v8, v17
	;; [unrolled: 1-line block ×10, first 2 shown]
	v_fma_f32 v17, v7, v17, -v30
	v_fmac_f32_e32 v31, v7, v18
	v_fma_f32 v7, v9, v19, -v8
	v_fma_f32 v8, v11, v21, -v32
	v_fmac_f32_e32 v12, v11, v22
	v_fma_f32 v11, v27, v25, -v34
	v_fmac_f32_e32 v28, v27, v26
	v_fmac_f32_e32 v10, v9, v20
	v_fma_f32 v9, v13, v23, -v33
	v_fmac_f32_e32 v14, v13, v24
	v_add_f32_e32 v22, v8, v11
	v_sub_f32_e32 v23, v12, v28
	v_add_f32_e32 v24, v31, v12
	v_add_f32_e32 v12, v12, v28
	;; [unrolled: 1-line block ×6, first 2 shown]
	v_sub_f32_e32 v8, v8, v11
	v_fmac_f32_e32 v17, -0.5, v22
	v_fmac_f32_e32 v31, -0.5, v12
	v_sub_f32_e32 v19, v10, v14
	v_add_f32_e32 v10, v10, v14
	v_sub_f32_e32 v7, v7, v9
	v_add_f32_e32 v9, v13, v9
	v_fma_f32 v18, -0.5, v18, v15
	v_add_f32_e32 v13, v20, v14
	v_fmamk_f32 v12, v23, 0x3f5db3d7, v17
	v_fmamk_f32 v14, v8, 0xbf5db3d7, v31
	v_fmac_f32_e32 v17, 0xbf5db3d7, v23
	v_fmac_f32_e32 v31, 0x3f5db3d7, v8
	v_fma_f32 v20, -0.5, v10, v16
	v_fmamk_f32 v15, v19, 0x3f5db3d7, v18
	v_fmac_f32_e32 v18, 0xbf5db3d7, v19
	v_mul_f32_e32 v19, 0x3f5db3d7, v14
	v_mul_f32_e32 v22, 0xbf5db3d7, v12
	v_add_f32_e32 v10, v21, v11
	v_mul_f32_e32 v21, -0.5, v17
	v_mul_f32_e32 v23, -0.5, v31
	v_add_f32_e32 v11, v24, v28
	v_fmamk_f32 v16, v7, 0xbf5db3d7, v20
	v_fmac_f32_e32 v19, 0.5, v12
	v_fmac_f32_e32 v22, 0.5, v14
	v_fmac_f32_e32 v20, 0x3f5db3d7, v7
	v_fmac_f32_e32 v21, 0x3f5db3d7, v31
	;; [unrolled: 1-line block ×3, first 2 shown]
	v_add_f32_e32 v7, v9, v10
	v_add_f32_e32 v8, v13, v11
	v_sub_f32_e32 v9, v9, v10
	v_sub_f32_e32 v10, v13, v11
	v_add_f32_e32 v11, v15, v19
	v_add_f32_e32 v12, v16, v22
	v_add_f32_e32 v13, v18, v21
	v_add_f32_e32 v14, v20, v23
	v_sub_f32_e32 v15, v15, v19
	v_sub_f32_e32 v17, v18, v21
	;; [unrolled: 1-line block ×4, first 2 shown]
	ds_write2_b64 v29, v[7:8], v[11:12] offset1:33
	ds_write2_b64 v29, v[13:14], v[9:10] offset0:66 offset1:99
	ds_write2_b64 v29, v[15:16], v[17:18] offset0:132 offset1:165
	s_waitcnt lgkmcnt(0)
	s_barrier
	buffer_gl0_inv
	s_and_saveexec_b32 s0, vcc_lo
	s_cbranch_execz .LBB0_15
; %bb.14:
	v_lshlrev_b32_e32 v23, 1, v1
	v_mov_b32_e32 v24, 0
	v_mul_hi_u32 v15, 0xa57eb503, v1
	v_lshlrev_b64 v[7:8], 3, v[23:24]
	v_lshlrev_b32_e32 v23, 1, v0
	v_mov_b32_e32 v1, v24
	v_lshlrev_b64 v[11:12], 3, v[23:24]
	v_add_co_u32 v7, vcc_lo, s8, v7
	v_add_co_ci_u32_e32 v8, vcc_lo, s9, v8, vcc_lo
	v_lshrrev_b32_e32 v23, 7, v15
	v_add_co_u32 v11, vcc_lo, s8, v11
	global_load_dwordx4 v[7:10], v[7:8], off offset:1496
	v_add_co_ci_u32_e32 v12, vcc_lo, s9, v12, vcc_lo
	v_lshlrev_b64 v[0:1], 3, v[0:1]
	v_mul_u32_u24_e32 v23, 0x18c, v23
	v_add_co_u32 v2, vcc_lo, s2, v2
	global_load_dwordx4 v[11:14], v[11:12], off offset:1496
	ds_read2_b64 v[15:18], v6 offset0:70 offset1:169
	ds_read2_b64 v[19:22], v5 offset0:140 offset1:239
	v_add_co_ci_u32_e32 v3, vcc_lo, s3, v3, vcc_lo
	v_lshlrev_b64 v[5:6], 3, v[23:24]
	v_add_co_u32 v23, vcc_lo, v2, v0
	v_add_co_ci_u32_e32 v24, vcc_lo, v3, v1, vcc_lo
	ds_read2_b64 v[0:3], v4 offset1:99
	v_add_co_u32 v4, vcc_lo, v23, v5
	v_add_co_ci_u32_e32 v5, vcc_lo, v24, v6, vcc_lo
	v_add_co_u32 v25, vcc_lo, 0x800, v23
	v_add_co_ci_u32_e32 v26, vcc_lo, 0, v24, vcc_lo
	v_add_co_u32 v27, vcc_lo, 0x318, v4
	v_add_co_ci_u32_e32 v28, vcc_lo, 0, v5, vcc_lo
	v_add_co_u32 v29, vcc_lo, 0x800, v4
	v_add_co_ci_u32_e32 v30, vcc_lo, 0, v5, vcc_lo
	s_waitcnt vmcnt(1) lgkmcnt(2)
	v_mul_f32_e32 v6, v8, v18
	s_waitcnt lgkmcnt(1)
	v_mul_f32_e32 v31, v10, v22
	v_mul_f32_e32 v18, v7, v18
	;; [unrolled: 1-line block ×3, first 2 shown]
	v_fma_f32 v6, v7, v17, -v6
	v_fma_f32 v9, v9, v21, -v31
	v_fmac_f32_e32 v18, v8, v17
	v_fmac_f32_e32 v22, v10, v21
	s_waitcnt vmcnt(0)
	v_mul_f32_e32 v7, v12, v16
	v_mul_f32_e32 v8, v14, v20
	;; [unrolled: 1-line block ×4, first 2 shown]
	v_sub_f32_e32 v17, v6, v9
	v_add_f32_e32 v21, v6, v9
	s_waitcnt lgkmcnt(0)
	v_add_f32_e32 v6, v6, v2
	v_fma_f32 v11, v11, v15, -v7
	v_fma_f32 v8, v13, v19, -v8
	v_fmac_f32_e32 v10, v12, v15
	v_fmac_f32_e32 v16, v14, v19
	v_add_f32_e32 v6, v6, v9
	v_add_f32_e32 v20, v18, v22
	;; [unrolled: 1-line block ×5, first 2 shown]
	v_sub_f32_e32 v15, v10, v16
	v_add_f32_e32 v10, v10, v1
	v_sub_f32_e32 v14, v11, v8
	v_fma_f32 v0, -0.5, v12, v0
	v_fma_f32 v1, -0.5, v9, v1
	v_sub_f32_e32 v31, v18, v22
	v_add_f32_e32 v18, v18, v3
	v_fma_f32 v3, -0.5, v20, v3
	v_fma_f32 v2, -0.5, v21, v2
	v_add_f32_e32 v11, v16, v10
	v_add_f32_e32 v10, v13, v8
	v_fmamk_f32 v13, v14, 0x3f5db3d7, v1
	v_fmamk_f32 v12, v15, 0xbf5db3d7, v0
	v_fmac_f32_e32 v1, 0xbf5db3d7, v14
	v_fmac_f32_e32 v0, 0x3f5db3d7, v15
	v_add_f32_e32 v7, v18, v22
	v_fmamk_f32 v9, v17, 0x3f5db3d7, v3
	v_fmamk_f32 v8, v31, 0xbf5db3d7, v2
	v_fmac_f32_e32 v3, 0xbf5db3d7, v17
	v_fmac_f32_e32 v2, 0x3f5db3d7, v31
	global_store_dwordx2 v[23:24], v[10:11], off
	global_store_dwordx2 v[23:24], v[0:1], off offset:1584
	global_store_dwordx2 v[25:26], v[12:13], off offset:1120
	;; [unrolled: 1-line block ×5, first 2 shown]
.LBB0_15:
	s_endpgm
	.section	.rodata,"a",@progbits
	.p2align	6, 0x0
	.amdhsa_kernel fft_rtc_fwd_len594_factors_11_3_6_3_wgs_99_tpt_99_sp_ip_CI_unitstride_sbrr_dirReg
		.amdhsa_group_segment_fixed_size 0
		.amdhsa_private_segment_fixed_size 0
		.amdhsa_kernarg_size 88
		.amdhsa_user_sgpr_count 6
		.amdhsa_user_sgpr_private_segment_buffer 1
		.amdhsa_user_sgpr_dispatch_ptr 0
		.amdhsa_user_sgpr_queue_ptr 0
		.amdhsa_user_sgpr_kernarg_segment_ptr 1
		.amdhsa_user_sgpr_dispatch_id 0
		.amdhsa_user_sgpr_flat_scratch_init 0
		.amdhsa_user_sgpr_private_segment_size 0
		.amdhsa_wavefront_size32 1
		.amdhsa_uses_dynamic_stack 0
		.amdhsa_system_sgpr_private_segment_wavefront_offset 0
		.amdhsa_system_sgpr_workgroup_id_x 1
		.amdhsa_system_sgpr_workgroup_id_y 0
		.amdhsa_system_sgpr_workgroup_id_z 0
		.amdhsa_system_sgpr_workgroup_info 0
		.amdhsa_system_vgpr_workitem_id 0
		.amdhsa_next_free_vgpr 79
		.amdhsa_next_free_sgpr 21
		.amdhsa_reserve_vcc 1
		.amdhsa_reserve_flat_scratch 0
		.amdhsa_float_round_mode_32 0
		.amdhsa_float_round_mode_16_64 0
		.amdhsa_float_denorm_mode_32 3
		.amdhsa_float_denorm_mode_16_64 3
		.amdhsa_dx10_clamp 1
		.amdhsa_ieee_mode 1
		.amdhsa_fp16_overflow 0
		.amdhsa_workgroup_processor_mode 1
		.amdhsa_memory_ordered 1
		.amdhsa_forward_progress 0
		.amdhsa_shared_vgpr_count 0
		.amdhsa_exception_fp_ieee_invalid_op 0
		.amdhsa_exception_fp_denorm_src 0
		.amdhsa_exception_fp_ieee_div_zero 0
		.amdhsa_exception_fp_ieee_overflow 0
		.amdhsa_exception_fp_ieee_underflow 0
		.amdhsa_exception_fp_ieee_inexact 0
		.amdhsa_exception_int_div_zero 0
	.end_amdhsa_kernel
	.text
.Lfunc_end0:
	.size	fft_rtc_fwd_len594_factors_11_3_6_3_wgs_99_tpt_99_sp_ip_CI_unitstride_sbrr_dirReg, .Lfunc_end0-fft_rtc_fwd_len594_factors_11_3_6_3_wgs_99_tpt_99_sp_ip_CI_unitstride_sbrr_dirReg
                                        ; -- End function
	.section	.AMDGPU.csdata,"",@progbits
; Kernel info:
; codeLenInByte = 5008
; NumSgprs: 23
; NumVgprs: 79
; ScratchSize: 0
; MemoryBound: 0
; FloatMode: 240
; IeeeMode: 1
; LDSByteSize: 0 bytes/workgroup (compile time only)
; SGPRBlocks: 2
; VGPRBlocks: 9
; NumSGPRsForWavesPerEU: 23
; NumVGPRsForWavesPerEU: 79
; Occupancy: 12
; WaveLimiterHint : 1
; COMPUTE_PGM_RSRC2:SCRATCH_EN: 0
; COMPUTE_PGM_RSRC2:USER_SGPR: 6
; COMPUTE_PGM_RSRC2:TRAP_HANDLER: 0
; COMPUTE_PGM_RSRC2:TGID_X_EN: 1
; COMPUTE_PGM_RSRC2:TGID_Y_EN: 0
; COMPUTE_PGM_RSRC2:TGID_Z_EN: 0
; COMPUTE_PGM_RSRC2:TIDIG_COMP_CNT: 0
	.text
	.p2alignl 6, 3214868480
	.fill 48, 4, 3214868480
	.type	__hip_cuid_7f49c25a735c4481,@object ; @__hip_cuid_7f49c25a735c4481
	.section	.bss,"aw",@nobits
	.globl	__hip_cuid_7f49c25a735c4481
__hip_cuid_7f49c25a735c4481:
	.byte	0                               ; 0x0
	.size	__hip_cuid_7f49c25a735c4481, 1

	.ident	"AMD clang version 19.0.0git (https://github.com/RadeonOpenCompute/llvm-project roc-6.4.0 25133 c7fe45cf4b819c5991fe208aaa96edf142730f1d)"
	.section	".note.GNU-stack","",@progbits
	.addrsig
	.addrsig_sym __hip_cuid_7f49c25a735c4481
	.amdgpu_metadata
---
amdhsa.kernels:
  - .args:
      - .actual_access:  read_only
        .address_space:  global
        .offset:         0
        .size:           8
        .value_kind:     global_buffer
      - .offset:         8
        .size:           8
        .value_kind:     by_value
      - .actual_access:  read_only
        .address_space:  global
        .offset:         16
        .size:           8
        .value_kind:     global_buffer
      - .actual_access:  read_only
        .address_space:  global
        .offset:         24
        .size:           8
        .value_kind:     global_buffer
      - .offset:         32
        .size:           8
        .value_kind:     by_value
      - .actual_access:  read_only
        .address_space:  global
        .offset:         40
        .size:           8
        .value_kind:     global_buffer
      - .actual_access:  read_only
        .address_space:  global
        .offset:         48
        .size:           8
        .value_kind:     global_buffer
      - .offset:         56
        .size:           4
        .value_kind:     by_value
      - .actual_access:  read_only
        .address_space:  global
        .offset:         64
        .size:           8
        .value_kind:     global_buffer
      - .actual_access:  read_only
        .address_space:  global
        .offset:         72
        .size:           8
        .value_kind:     global_buffer
      - .address_space:  global
        .offset:         80
        .size:           8
        .value_kind:     global_buffer
    .group_segment_fixed_size: 0
    .kernarg_segment_align: 8
    .kernarg_segment_size: 88
    .language:       OpenCL C
    .language_version:
      - 2
      - 0
    .max_flat_workgroup_size: 99
    .name:           fft_rtc_fwd_len594_factors_11_3_6_3_wgs_99_tpt_99_sp_ip_CI_unitstride_sbrr_dirReg
    .private_segment_fixed_size: 0
    .sgpr_count:     23
    .sgpr_spill_count: 0
    .symbol:         fft_rtc_fwd_len594_factors_11_3_6_3_wgs_99_tpt_99_sp_ip_CI_unitstride_sbrr_dirReg.kd
    .uniform_work_group_size: 1
    .uses_dynamic_stack: false
    .vgpr_count:     79
    .vgpr_spill_count: 0
    .wavefront_size: 32
    .workgroup_processor_mode: 1
amdhsa.target:   amdgcn-amd-amdhsa--gfx1030
amdhsa.version:
  - 1
  - 2
...

	.end_amdgpu_metadata
